;; amdgpu-corpus repo=ROCm/rocFFT kind=compiled arch=gfx1030 opt=O3
	.text
	.amdgcn_target "amdgcn-amd-amdhsa--gfx1030"
	.amdhsa_code_object_version 6
	.protected	fft_rtc_back_len42_factors_7_6_wgs_252_tpt_7_halfLds_sp_op_CI_CI_unitstride_sbrr_dirReg ; -- Begin function fft_rtc_back_len42_factors_7_6_wgs_252_tpt_7_halfLds_sp_op_CI_CI_unitstride_sbrr_dirReg
	.globl	fft_rtc_back_len42_factors_7_6_wgs_252_tpt_7_halfLds_sp_op_CI_CI_unitstride_sbrr_dirReg
	.p2align	8
	.type	fft_rtc_back_len42_factors_7_6_wgs_252_tpt_7_halfLds_sp_op_CI_CI_unitstride_sbrr_dirReg,@function
fft_rtc_back_len42_factors_7_6_wgs_252_tpt_7_halfLds_sp_op_CI_CI_unitstride_sbrr_dirReg: ; @fft_rtc_back_len42_factors_7_6_wgs_252_tpt_7_halfLds_sp_op_CI_CI_unitstride_sbrr_dirReg
; %bb.0:
	s_load_dwordx4 s[12:15], s[4:5], 0x0
	v_mul_u32_u24_e32 v1, 0x2493, v0
	s_clause 0x1
	s_load_dwordx4 s[8:11], s[4:5], 0x58
	s_load_dwordx4 s[16:19], s[4:5], 0x18
	v_mov_b32_e32 v7, 0
	v_mov_b32_e32 v9, 0
	;; [unrolled: 1-line block ×3, first 2 shown]
	v_lshrrev_b32_e32 v1, 16, v1
	v_mad_u64_u32 v[3:4], null, s6, 36, v[1:2]
	v_mov_b32_e32 v4, v7
	v_mov_b32_e32 v1, v9
	;; [unrolled: 1-line block ×5, first 2 shown]
	s_waitcnt lgkmcnt(0)
	v_cmp_lt_u64_e64 s0, s[14:15], 2
	s_and_b32 vcc_lo, exec_lo, s0
	s_cbranch_vccnz .LBB0_8
; %bb.1:
	s_load_dwordx2 s[0:1], s[4:5], 0x10
	v_mov_b32_e32 v9, 0
	v_mov_b32_e32 v10, 0
	s_add_u32 s2, s18, 8
	v_mov_b32_e32 v12, v4
	s_addc_u32 s3, s19, 0
	v_mov_b32_e32 v1, v9
	v_mov_b32_e32 v11, v3
	s_add_u32 s6, s16, 8
	v_mov_b32_e32 v2, v10
	s_addc_u32 s7, s17, 0
	s_mov_b64 s[22:23], 1
	s_waitcnt lgkmcnt(0)
	s_add_u32 s20, s0, 8
	s_addc_u32 s21, s1, 0
.LBB0_2:                                ; =>This Inner Loop Header: Depth=1
	s_load_dwordx2 s[24:25], s[20:21], 0x0
                                        ; implicit-def: $vgpr5_vgpr6
	s_mov_b32 s0, exec_lo
	s_waitcnt lgkmcnt(0)
	v_or_b32_e32 v8, s25, v12
	v_cmpx_ne_u64_e32 0, v[7:8]
	s_xor_b32 s1, exec_lo, s0
	s_cbranch_execz .LBB0_4
; %bb.3:                                ;   in Loop: Header=BB0_2 Depth=1
	v_cvt_f32_u32_e32 v4, s24
	v_cvt_f32_u32_e32 v5, s25
	s_sub_u32 s0, 0, s24
	s_subb_u32 s26, 0, s25
	v_fmac_f32_e32 v4, 0x4f800000, v5
	v_rcp_f32_e32 v4, v4
	v_mul_f32_e32 v4, 0x5f7ffffc, v4
	v_mul_f32_e32 v5, 0x2f800000, v4
	v_trunc_f32_e32 v5, v5
	v_fmac_f32_e32 v4, 0xcf800000, v5
	v_cvt_u32_f32_e32 v5, v5
	v_cvt_u32_f32_e32 v4, v4
	v_mul_lo_u32 v6, s0, v5
	v_mul_hi_u32 v8, s0, v4
	v_mul_lo_u32 v13, s26, v4
	v_add_nc_u32_e32 v6, v8, v6
	v_mul_lo_u32 v8, s0, v4
	v_add_nc_u32_e32 v6, v6, v13
	v_mul_hi_u32 v13, v4, v8
	v_mul_lo_u32 v14, v4, v6
	v_mul_hi_u32 v15, v4, v6
	v_mul_hi_u32 v16, v5, v8
	v_mul_lo_u32 v8, v5, v8
	v_mul_hi_u32 v17, v5, v6
	v_mul_lo_u32 v6, v5, v6
	v_add_co_u32 v13, vcc_lo, v13, v14
	v_add_co_ci_u32_e32 v14, vcc_lo, 0, v15, vcc_lo
	v_add_co_u32 v8, vcc_lo, v13, v8
	v_add_co_ci_u32_e32 v8, vcc_lo, v14, v16, vcc_lo
	v_add_co_ci_u32_e32 v13, vcc_lo, 0, v17, vcc_lo
	v_add_co_u32 v6, vcc_lo, v8, v6
	v_add_co_ci_u32_e32 v8, vcc_lo, 0, v13, vcc_lo
	v_add_co_u32 v4, vcc_lo, v4, v6
	v_add_co_ci_u32_e32 v5, vcc_lo, v5, v8, vcc_lo
	v_mul_hi_u32 v6, s0, v4
	v_mul_lo_u32 v13, s26, v4
	v_mul_lo_u32 v8, s0, v5
	v_add_nc_u32_e32 v6, v6, v8
	v_mul_lo_u32 v8, s0, v4
	v_add_nc_u32_e32 v6, v6, v13
	v_mul_hi_u32 v13, v4, v8
	v_mul_lo_u32 v14, v4, v6
	v_mul_hi_u32 v15, v4, v6
	v_mul_hi_u32 v16, v5, v8
	v_mul_lo_u32 v8, v5, v8
	v_mul_hi_u32 v17, v5, v6
	v_mul_lo_u32 v6, v5, v6
	v_add_co_u32 v13, vcc_lo, v13, v14
	v_add_co_ci_u32_e32 v14, vcc_lo, 0, v15, vcc_lo
	v_add_co_u32 v8, vcc_lo, v13, v8
	v_add_co_ci_u32_e32 v8, vcc_lo, v14, v16, vcc_lo
	v_add_co_ci_u32_e32 v13, vcc_lo, 0, v17, vcc_lo
	v_add_co_u32 v6, vcc_lo, v8, v6
	v_add_co_ci_u32_e32 v8, vcc_lo, 0, v13, vcc_lo
	v_add_co_u32 v6, vcc_lo, v4, v6
	v_add_co_ci_u32_e32 v8, vcc_lo, v5, v8, vcc_lo
	v_mul_hi_u32 v17, v11, v6
	v_mad_u64_u32 v[13:14], null, v12, v6, 0
	v_mad_u64_u32 v[4:5], null, v11, v8, 0
	;; [unrolled: 1-line block ×3, first 2 shown]
	v_add_co_u32 v4, vcc_lo, v17, v4
	v_add_co_ci_u32_e32 v5, vcc_lo, 0, v5, vcc_lo
	v_add_co_u32 v4, vcc_lo, v4, v13
	v_add_co_ci_u32_e32 v4, vcc_lo, v5, v14, vcc_lo
	v_add_co_ci_u32_e32 v5, vcc_lo, 0, v16, vcc_lo
	v_add_co_u32 v8, vcc_lo, v4, v15
	v_add_co_ci_u32_e32 v6, vcc_lo, 0, v5, vcc_lo
	v_mul_lo_u32 v13, s25, v8
	v_mad_u64_u32 v[4:5], null, s24, v8, 0
	v_mul_lo_u32 v14, s24, v6
	v_sub_co_u32 v4, vcc_lo, v11, v4
	v_add3_u32 v5, v5, v14, v13
	v_sub_nc_u32_e32 v13, v12, v5
	v_subrev_co_ci_u32_e64 v13, s0, s25, v13, vcc_lo
	v_add_co_u32 v14, s0, v8, 2
	v_add_co_ci_u32_e64 v15, s0, 0, v6, s0
	v_sub_co_u32 v16, s0, v4, s24
	v_sub_co_ci_u32_e32 v5, vcc_lo, v12, v5, vcc_lo
	v_subrev_co_ci_u32_e64 v13, s0, 0, v13, s0
	v_cmp_le_u32_e32 vcc_lo, s24, v16
	v_cmp_eq_u32_e64 s0, s25, v5
	v_cndmask_b32_e64 v16, 0, -1, vcc_lo
	v_cmp_le_u32_e32 vcc_lo, s25, v13
	v_cndmask_b32_e64 v17, 0, -1, vcc_lo
	v_cmp_le_u32_e32 vcc_lo, s24, v4
	;; [unrolled: 2-line block ×3, first 2 shown]
	v_cndmask_b32_e64 v18, 0, -1, vcc_lo
	v_cmp_eq_u32_e32 vcc_lo, s25, v13
	v_cndmask_b32_e64 v4, v18, v4, s0
	v_cndmask_b32_e32 v13, v17, v16, vcc_lo
	v_add_co_u32 v16, vcc_lo, v8, 1
	v_add_co_ci_u32_e32 v17, vcc_lo, 0, v6, vcc_lo
	v_cmp_ne_u32_e32 vcc_lo, 0, v13
	v_cndmask_b32_e32 v5, v17, v15, vcc_lo
	v_cndmask_b32_e32 v13, v16, v14, vcc_lo
	v_cmp_ne_u32_e32 vcc_lo, 0, v4
	v_cndmask_b32_e32 v6, v6, v5, vcc_lo
	v_cndmask_b32_e32 v5, v8, v13, vcc_lo
.LBB0_4:                                ;   in Loop: Header=BB0_2 Depth=1
	s_andn2_saveexec_b32 s0, s1
	s_cbranch_execz .LBB0_6
; %bb.5:                                ;   in Loop: Header=BB0_2 Depth=1
	v_cvt_f32_u32_e32 v4, s24
	s_sub_i32 s1, 0, s24
	v_rcp_iflag_f32_e32 v4, v4
	v_mul_f32_e32 v4, 0x4f7ffffe, v4
	v_cvt_u32_f32_e32 v4, v4
	v_mul_lo_u32 v5, s1, v4
	v_mul_hi_u32 v5, v4, v5
	v_add_nc_u32_e32 v4, v4, v5
	v_mul_hi_u32 v4, v11, v4
	v_mul_lo_u32 v5, v4, s24
	v_add_nc_u32_e32 v6, 1, v4
	v_sub_nc_u32_e32 v5, v11, v5
	v_subrev_nc_u32_e32 v8, s24, v5
	v_cmp_le_u32_e32 vcc_lo, s24, v5
	v_cndmask_b32_e32 v5, v5, v8, vcc_lo
	v_cndmask_b32_e32 v4, v4, v6, vcc_lo
	v_cmp_le_u32_e32 vcc_lo, s24, v5
	v_add_nc_u32_e32 v6, 1, v4
	v_cndmask_b32_e32 v5, v4, v6, vcc_lo
	v_mov_b32_e32 v6, v7
.LBB0_6:                                ;   in Loop: Header=BB0_2 Depth=1
	s_or_b32 exec_lo, exec_lo, s0
	v_mul_lo_u32 v4, v6, s24
	v_mul_lo_u32 v8, v5, s25
	s_load_dwordx2 s[0:1], s[6:7], 0x0
	v_mad_u64_u32 v[13:14], null, v5, s24, 0
	s_load_dwordx2 s[24:25], s[2:3], 0x0
	s_add_u32 s22, s22, 1
	s_addc_u32 s23, s23, 0
	s_add_u32 s2, s2, 8
	s_addc_u32 s3, s3, 0
	s_add_u32 s6, s6, 8
	v_add3_u32 v4, v14, v8, v4
	v_sub_co_u32 v8, vcc_lo, v11, v13
	s_addc_u32 s7, s7, 0
	s_add_u32 s20, s20, 8
	v_sub_co_ci_u32_e32 v4, vcc_lo, v12, v4, vcc_lo
	s_addc_u32 s21, s21, 0
	s_waitcnt lgkmcnt(0)
	v_mul_lo_u32 v11, s0, v4
	v_mul_lo_u32 v12, s1, v8
	v_mad_u64_u32 v[9:10], null, s0, v8, v[9:10]
	v_mul_lo_u32 v4, s24, v4
	v_mul_lo_u32 v13, s25, v8
	v_mad_u64_u32 v[1:2], null, s24, v8, v[1:2]
	v_cmp_ge_u64_e64 s0, s[22:23], s[14:15]
	v_add3_u32 v10, v12, v10, v11
	v_add3_u32 v2, v13, v2, v4
	s_and_b32 vcc_lo, exec_lo, s0
	s_cbranch_vccnz .LBB0_8
; %bb.7:                                ;   in Loop: Header=BB0_2 Depth=1
	v_mov_b32_e32 v12, v6
	v_mov_b32_e32 v11, v5
	s_branch .LBB0_2
.LBB0_8:
	s_load_dwordx2 s[0:1], s[4:5], 0x28
	s_lshl_b64 s[4:5], s[14:15], 3
	v_mul_hi_u32 v4, 0x24924925, v0
	s_add_u32 s2, s18, s4
	s_addc_u32 s3, s19, s5
	v_mov_b32_e32 v7, 0
	s_load_dwordx2 s[2:3], s[2:3], 0x0
	v_mov_b32_e32 v14, 0
	v_mov_b32_e32 v8, 0
	;; [unrolled: 1-line block ×3, first 2 shown]
	v_mul_u32_u24_e32 v4, 7, v4
	v_mov_b32_e32 v18, 0
	v_mov_b32_e32 v17, 0
	;; [unrolled: 1-line block ×4, first 2 shown]
	v_sub_nc_u32_e32 v11, v0, v4
	v_mov_b32_e32 v16, 0
	v_mov_b32_e32 v15, 0
                                        ; implicit-def: $vgpr26
                                        ; implicit-def: $vgpr24
                                        ; implicit-def: $vgpr22
	s_waitcnt lgkmcnt(0)
	v_cmp_gt_u64_e32 vcc_lo, s[0:1], v[5:6]
	s_and_saveexec_b32 s1, vcc_lo
	s_cbranch_execz .LBB0_12
; %bb.9:
	v_mov_b32_e32 v7, 6
	v_mov_b32_e32 v8, 0
	;; [unrolled: 1-line block ×11, first 2 shown]
	s_mov_b32 s6, exec_lo
                                        ; implicit-def: $vgpr21
                                        ; implicit-def: $vgpr23
                                        ; implicit-def: $vgpr25
	v_cmpx_gt_u32_e32 6, v11
	s_cbranch_execz .LBB0_11
; %bb.10:
	s_add_u32 s4, s16, s4
	s_addc_u32 s5, s17, s5
	v_mov_b32_e32 v12, 0
	s_load_dwordx2 s[4:5], s[4:5], 0x0
	v_lshlrev_b64 v[9:10], 3, v[9:10]
	s_waitcnt lgkmcnt(0)
	v_mul_lo_u32 v0, s5, v5
	v_mul_lo_u32 v4, s4, v6
	v_mad_u64_u32 v[7:8], null, s4, v5, 0
	v_add3_u32 v8, v8, v4, v0
	v_lshlrev_b64 v[7:8], 3, v[7:8]
	v_add_co_u32 v0, s0, s8, v7
	v_add_co_ci_u32_e64 v4, s0, s9, v8, s0
	v_lshlrev_b64 v[7:8], 3, v[11:12]
	v_add_co_u32 v0, s0, v0, v9
	v_add_co_ci_u32_e64 v4, s0, v4, v10, s0
	v_add_co_u32 v7, s0, v0, v7
	v_add_co_ci_u32_e64 v8, s0, v4, v8, s0
	v_mov_b32_e32 v0, v11
	s_clause 0x6
	global_load_dwordx2 v[13:14], v[7:8], off
	global_load_dwordx2 v[17:18], v[7:8], off offset:48
	global_load_dwordx2 v[19:20], v[7:8], off offset:96
	;; [unrolled: 1-line block ×6, first 2 shown]
	v_mov_b32_e32 v7, v11
	v_mov_b32_e32 v8, v12
.LBB0_11:
	s_or_b32 exec_lo, exec_lo, s6
	v_mov_b32_e32 v11, v0
.LBB0_12:
	s_or_b32 exec_lo, exec_lo, s1
	v_mul_hi_u32 v0, 0x38e38e39, v3
	v_cmp_gt_u32_e64 s0, 6, v11
	v_lshrrev_b32_e32 v0, 3, v0
	v_mul_lo_u32 v0, v0, 36
	v_sub_nc_u32_e32 v0, v3, v0
	v_mul_u32_u24_e32 v0, 42, v0
	v_lshlrev_b32_e32 v28, 2, v0
	s_and_saveexec_b32 s1, s0
	s_cbranch_execz .LBB0_14
; %bb.13:
	s_waitcnt vmcnt(0)
	v_add_f32_e32 v0, v17, v25
	v_add_f32_e32 v3, v19, v23
	;; [unrolled: 1-line block ×3, first 2 shown]
	v_sub_f32_e32 v10, v16, v22
	v_sub_f32_e32 v27, v20, v24
	;; [unrolled: 1-line block ×3, first 2 shown]
	v_add_f32_e32 v12, v0, v3
	v_sub_f32_e32 v29, v0, v4
	v_sub_f32_e32 v30, v4, v3
	;; [unrolled: 1-line block ×4, first 2 shown]
	v_add_f32_e32 v4, v12, v4
	v_sub_f32_e32 v12, v10, v27
	v_add_f32_e32 v10, v27, v10
	v_sub_f32_e32 v27, v27, v9
	v_mul_f32_e32 v30, 0x3d64c772, v30
	v_add_f32_e32 v13, v13, v4
	v_mul_f32_e32 v3, 0x3f4a47b2, v29
	v_mul_f32_e32 v12, 0x3f08b237, v12
	;; [unrolled: 1-line block ×3, first 2 shown]
	v_fmamk_f32 v29, v29, 0x3f4a47b2, v30
	v_fmamk_f32 v4, v4, 0xbf955555, v13
	v_add_f32_e32 v9, v9, v10
	v_fma_f32 v3, 0xbf3bfb3b, v0, -v3
	v_fma_f32 v27, 0xbf5ff5aa, v27, -v12
	;; [unrolled: 1-line block ×3, first 2 shown]
	v_fmamk_f32 v12, v31, 0xbeae86e6, v12
	v_fma_f32 v10, 0x3eae86e6, v31, -v32
	v_add_f32_e32 v29, v29, v4
	v_add_f32_e32 v3, v3, v4
	;; [unrolled: 1-line block ×3, first 2 shown]
	v_fmac_f32_e32 v12, 0xbee1c552, v9
	v_mul_u32_u24_e32 v4, 28, v11
	v_fmac_f32_e32 v10, 0xbee1c552, v9
	v_fmac_f32_e32 v27, 0xbee1c552, v9
	v_add_f32_e32 v31, v12, v29
	v_add3_u32 v4, 0, v4, v28
	v_sub_f32_e32 v9, v3, v10
	v_sub_f32_e32 v30, v0, v27
	v_add_f32_e32 v3, v10, v3
	v_add_f32_e32 v0, v27, v0
	v_sub_f32_e32 v10, v29, v12
	ds_write2_b32 v4, v13, v31 offset1:1
	ds_write2_b32 v4, v3, v30 offset0:2 offset1:3
	ds_write2_b32 v4, v0, v9 offset0:4 offset1:5
	ds_write_b32 v4, v10 offset:24
.LBB0_14:
	s_or_b32 exec_lo, exec_lo, s1
	v_lshlrev_b32_e32 v0, 2, v11
	s_waitcnt vmcnt(0) lgkmcnt(0)
	s_barrier
	buffer_gl0_inv
	v_add_nc_u32_e32 v29, 0, v0
	v_add3_u32 v27, 0, v28, v0
	v_add_nc_u32_e32 v13, v29, v28
	ds_read2_b32 v[3:4], v13 offset0:7 offset1:14
	ds_read2_b32 v[9:10], v13 offset0:21 offset1:28
	ds_read_b32 v0, v27
	ds_read_b32 v12, v13 offset:140
	s_waitcnt lgkmcnt(0)
	s_barrier
	buffer_gl0_inv
	s_and_saveexec_b32 s1, s0
	s_cbranch_execz .LBB0_16
; %bb.15:
	v_add_f32_e32 v18, v18, v26
	v_add_f32_e32 v20, v20, v24
	v_sub_f32_e32 v17, v17, v25
	v_add_f32_e32 v16, v16, v22
	v_sub_f32_e32 v19, v19, v23
	v_sub_f32_e32 v15, v15, v21
	v_add_f32_e32 v21, v18, v20
	v_sub_f32_e32 v22, v20, v18
	v_sub_f32_e32 v18, v18, v16
	v_sub_f32_e32 v20, v16, v20
	v_add_f32_e32 v23, v19, v15
	v_add_f32_e32 v16, v21, v16
	v_sub_f32_e32 v21, v15, v19
	v_sub_f32_e32 v19, v19, v17
	;; [unrolled: 1-line block ×3, first 2 shown]
	v_add_f32_e32 v17, v17, v23
	v_add_f32_e32 v14, v14, v16
	v_mul_f32_e32 v20, 0x3d64c772, v20
	v_mul_f32_e32 v23, 0x3f4a47b2, v18
	;; [unrolled: 1-line block ×4, first 2 shown]
	v_fmamk_f32 v16, v16, 0xbf955555, v14
	v_fmamk_f32 v18, v18, 0x3f4a47b2, v20
	v_fma_f32 v20, 0x3f3bfb3b, v22, -v20
	v_fma_f32 v22, 0xbf3bfb3b, v22, -v23
	v_fmamk_f32 v23, v15, 0xbeae86e6, v21
	v_fma_f32 v19, 0xbf5ff5aa, v19, -v21
	v_fma_f32 v15, 0x3eae86e6, v15, -v24
	v_add_f32_e32 v18, v18, v16
	v_add_f32_e32 v20, v20, v16
	v_fmac_f32_e32 v23, 0xbee1c552, v17
	v_fmac_f32_e32 v19, 0xbee1c552, v17
	;; [unrolled: 1-line block ×3, first 2 shown]
	v_mul_u32_u24_e32 v17, 24, v11
	v_add_f32_e32 v16, v22, v16
	v_sub_f32_e32 v21, v18, v23
	v_add_f32_e32 v24, v20, v19
	v_sub_f32_e32 v19, v20, v19
	v_add3_u32 v17, v29, v17, v28
	v_sub_f32_e32 v22, v16, v15
	v_add_f32_e32 v15, v16, v15
	v_add_f32_e32 v16, v18, v23
	ds_write2_b32 v17, v14, v21 offset1:1
	ds_write2_b32 v17, v22, v24 offset0:2 offset1:3
	ds_write2_b32 v17, v19, v15 offset0:4 offset1:5
	ds_write_b32 v17, v16 offset:24
.LBB0_16:
	s_or_b32 exec_lo, exec_lo, s1
	s_waitcnt lgkmcnt(0)
	s_barrier
	buffer_gl0_inv
	s_and_saveexec_b32 s0, vcc_lo
	s_cbranch_execz .LBB0_18
; %bb.17:
	v_mul_u32_u24_e32 v11, 5, v11
	v_mul_lo_u32 v24, s2, v6
	v_lshlrev_b64 v[1:2], 3, v[1:2]
	v_lshlrev_b32_e32 v11, 3, v11
	s_clause 0x2
	global_load_dwordx4 v[14:17], v11, s[12:13]
	global_load_dwordx4 v[18:21], v11, s[12:13] offset:16
	global_load_dwordx2 v[22:23], v11, s[12:13] offset:32
	v_mul_lo_u32 v11, s3, v5
	v_mad_u64_u32 v[5:6], null, s2, v5, 0
	v_add3_u32 v6, v6, v24, v11
	ds_read2_b32 v[24:25], v13 offset0:7 offset1:14
	ds_read2_b32 v[28:29], v13 offset0:21 offset1:28
	v_lshlrev_b64 v[5:6], 3, v[5:6]
	v_add_co_u32 v11, vcc_lo, s10, v5
	v_add_co_ci_u32_e32 v26, vcc_lo, s11, v6, vcc_lo
	v_lshlrev_b64 v[5:6], 3, v[7:8]
	ds_read_b32 v7, v27
	ds_read_b32 v8, v13 offset:140
	v_add_co_u32 v1, vcc_lo, v11, v1
	v_add_co_ci_u32_e32 v2, vcc_lo, v26, v2, vcc_lo
	v_add_co_u32 v1, vcc_lo, v1, v5
	v_add_co_ci_u32_e32 v2, vcc_lo, v2, v6, vcc_lo
	s_waitcnt vmcnt(2)
	v_mul_f32_e32 v5, v4, v17
	s_waitcnt vmcnt(1)
	v_mul_f32_e32 v6, v10, v21
	s_waitcnt lgkmcnt(3)
	v_mul_f32_e32 v11, v25, v17
	s_waitcnt lgkmcnt(2)
	v_mul_f32_e32 v13, v29, v21
	v_mul_f32_e32 v21, v9, v18
	s_waitcnt vmcnt(0)
	v_mul_f32_e32 v26, v12, v22
	v_mul_f32_e32 v9, v9, v19
	v_mul_f32_e32 v12, v12, v23
	v_mul_f32_e32 v17, v3, v14
	v_mul_f32_e32 v3, v3, v15
	v_fma_f32 v5, v25, v16, -v5
	v_fma_f32 v6, v29, v20, -v6
	v_fmac_f32_e32 v11, v4, v16
	v_fmac_f32_e32 v21, v28, v19
	s_waitcnt lgkmcnt(0)
	v_fmac_f32_e32 v26, v8, v23
	v_fma_f32 v4, v28, v18, -v9
	v_fma_f32 v8, v8, v22, -v12
	v_fmac_f32_e32 v13, v10, v20
	v_fmac_f32_e32 v17, v24, v15
	v_fma_f32 v3, v24, v14, -v3
	v_add_f32_e32 v9, v5, v6
	v_add_f32_e32 v12, v21, v26
	;; [unrolled: 1-line block ×3, first 2 shown]
	v_sub_f32_e32 v10, v11, v13
	v_sub_f32_e32 v16, v21, v26
	v_add_f32_e32 v18, v7, v5
	v_add_f32_e32 v19, v11, v13
	;; [unrolled: 1-line block ×4, first 2 shown]
	v_fma_f32 v7, -0.5, v9, v7
	v_fma_f32 v9, -0.5, v12, v17
	v_fma_f32 v12, -0.5, v15, v3
	v_sub_f32_e32 v14, v4, v8
	v_sub_f32_e32 v5, v5, v6
	v_add_f32_e32 v6, v18, v6
	v_fma_f32 v0, -0.5, v19, v0
	v_add_f32_e32 v11, v11, v13
	v_add_f32_e32 v13, v20, v26
	v_fmamk_f32 v18, v16, 0xbf5db3d7, v12
	v_fmac_f32_e32 v12, 0x3f5db3d7, v16
	v_add_f32_e32 v4, v3, v4
	v_fmamk_f32 v15, v10, 0xbf5db3d7, v7
	v_fmamk_f32 v17, v14, 0x3f5db3d7, v9
	v_fmac_f32_e32 v7, 0x3f5db3d7, v10
	v_fmac_f32_e32 v9, 0xbf5db3d7, v14
	v_fmamk_f32 v14, v5, 0x3f5db3d7, v0
	v_fmac_f32_e32 v0, 0xbf5db3d7, v5
	v_sub_f32_e32 v3, v11, v13
	v_mul_f32_e32 v10, -0.5, v18
	v_mul_f32_e32 v16, 0.5, v12
	v_add_f32_e32 v5, v11, v13
	v_mul_f32_e32 v13, 0xbf5db3d7, v18
	v_mul_f32_e32 v18, 0xbf5db3d7, v12
	v_add_f32_e32 v8, v4, v8
	v_fmac_f32_e32 v16, 0x3f5db3d7, v9
	v_fmac_f32_e32 v10, 0x3f5db3d7, v17
	v_fmac_f32_e32 v13, -0.5, v17
	v_fmac_f32_e32 v18, 0.5, v9
	v_sub_f32_e32 v4, v6, v8
	v_add_f32_e32 v6, v6, v8
	v_add_f32_e32 v12, v7, v16
	;; [unrolled: 1-line block ×4, first 2 shown]
	v_sub_f32_e32 v8, v7, v16
	global_store_dwordx2 v[1:2], v[5:6], off
	v_sub_f32_e32 v6, v15, v10
	v_add_f32_e32 v10, v15, v10
	v_sub_f32_e32 v7, v0, v18
	v_sub_f32_e32 v5, v14, v13
	global_store_dwordx2 v[1:2], v[3:4], off offset:168
	global_store_dwordx2 v[1:2], v[11:12], off offset:56
	;; [unrolled: 1-line block ×5, first 2 shown]
.LBB0_18:
	s_endpgm
	.section	.rodata,"a",@progbits
	.p2align	6, 0x0
	.amdhsa_kernel fft_rtc_back_len42_factors_7_6_wgs_252_tpt_7_halfLds_sp_op_CI_CI_unitstride_sbrr_dirReg
		.amdhsa_group_segment_fixed_size 0
		.amdhsa_private_segment_fixed_size 0
		.amdhsa_kernarg_size 104
		.amdhsa_user_sgpr_count 6
		.amdhsa_user_sgpr_private_segment_buffer 1
		.amdhsa_user_sgpr_dispatch_ptr 0
		.amdhsa_user_sgpr_queue_ptr 0
		.amdhsa_user_sgpr_kernarg_segment_ptr 1
		.amdhsa_user_sgpr_dispatch_id 0
		.amdhsa_user_sgpr_flat_scratch_init 0
		.amdhsa_user_sgpr_private_segment_size 0
		.amdhsa_wavefront_size32 1
		.amdhsa_uses_dynamic_stack 0
		.amdhsa_system_sgpr_private_segment_wavefront_offset 0
		.amdhsa_system_sgpr_workgroup_id_x 1
		.amdhsa_system_sgpr_workgroup_id_y 0
		.amdhsa_system_sgpr_workgroup_id_z 0
		.amdhsa_system_sgpr_workgroup_info 0
		.amdhsa_system_vgpr_workitem_id 0
		.amdhsa_next_free_vgpr 33
		.amdhsa_next_free_sgpr 27
		.amdhsa_reserve_vcc 1
		.amdhsa_reserve_flat_scratch 0
		.amdhsa_float_round_mode_32 0
		.amdhsa_float_round_mode_16_64 0
		.amdhsa_float_denorm_mode_32 3
		.amdhsa_float_denorm_mode_16_64 3
		.amdhsa_dx10_clamp 1
		.amdhsa_ieee_mode 1
		.amdhsa_fp16_overflow 0
		.amdhsa_workgroup_processor_mode 1
		.amdhsa_memory_ordered 1
		.amdhsa_forward_progress 0
		.amdhsa_shared_vgpr_count 0
		.amdhsa_exception_fp_ieee_invalid_op 0
		.amdhsa_exception_fp_denorm_src 0
		.amdhsa_exception_fp_ieee_div_zero 0
		.amdhsa_exception_fp_ieee_overflow 0
		.amdhsa_exception_fp_ieee_underflow 0
		.amdhsa_exception_fp_ieee_inexact 0
		.amdhsa_exception_int_div_zero 0
	.end_amdhsa_kernel
	.text
.Lfunc_end0:
	.size	fft_rtc_back_len42_factors_7_6_wgs_252_tpt_7_halfLds_sp_op_CI_CI_unitstride_sbrr_dirReg, .Lfunc_end0-fft_rtc_back_len42_factors_7_6_wgs_252_tpt_7_halfLds_sp_op_CI_CI_unitstride_sbrr_dirReg
                                        ; -- End function
	.section	.AMDGPU.csdata,"",@progbits
; Kernel info:
; codeLenInByte = 2820
; NumSgprs: 29
; NumVgprs: 33
; ScratchSize: 0
; MemoryBound: 0
; FloatMode: 240
; IeeeMode: 1
; LDSByteSize: 0 bytes/workgroup (compile time only)
; SGPRBlocks: 3
; VGPRBlocks: 4
; NumSGPRsForWavesPerEU: 29
; NumVGPRsForWavesPerEU: 33
; Occupancy: 16
; WaveLimiterHint : 1
; COMPUTE_PGM_RSRC2:SCRATCH_EN: 0
; COMPUTE_PGM_RSRC2:USER_SGPR: 6
; COMPUTE_PGM_RSRC2:TRAP_HANDLER: 0
; COMPUTE_PGM_RSRC2:TGID_X_EN: 1
; COMPUTE_PGM_RSRC2:TGID_Y_EN: 0
; COMPUTE_PGM_RSRC2:TGID_Z_EN: 0
; COMPUTE_PGM_RSRC2:TIDIG_COMP_CNT: 0
	.text
	.p2alignl 6, 3214868480
	.fill 48, 4, 3214868480
	.type	__hip_cuid_9be2e9ca0341b3a8,@object ; @__hip_cuid_9be2e9ca0341b3a8
	.section	.bss,"aw",@nobits
	.globl	__hip_cuid_9be2e9ca0341b3a8
__hip_cuid_9be2e9ca0341b3a8:
	.byte	0                               ; 0x0
	.size	__hip_cuid_9be2e9ca0341b3a8, 1

	.ident	"AMD clang version 19.0.0git (https://github.com/RadeonOpenCompute/llvm-project roc-6.4.0 25133 c7fe45cf4b819c5991fe208aaa96edf142730f1d)"
	.section	".note.GNU-stack","",@progbits
	.addrsig
	.addrsig_sym __hip_cuid_9be2e9ca0341b3a8
	.amdgpu_metadata
---
amdhsa.kernels:
  - .args:
      - .actual_access:  read_only
        .address_space:  global
        .offset:         0
        .size:           8
        .value_kind:     global_buffer
      - .offset:         8
        .size:           8
        .value_kind:     by_value
      - .actual_access:  read_only
        .address_space:  global
        .offset:         16
        .size:           8
        .value_kind:     global_buffer
      - .actual_access:  read_only
        .address_space:  global
        .offset:         24
        .size:           8
        .value_kind:     global_buffer
      - .actual_access:  read_only
        .address_space:  global
        .offset:         32
        .size:           8
        .value_kind:     global_buffer
      - .offset:         40
        .size:           8
        .value_kind:     by_value
      - .actual_access:  read_only
        .address_space:  global
        .offset:         48
        .size:           8
        .value_kind:     global_buffer
      - .actual_access:  read_only
        .address_space:  global
        .offset:         56
        .size:           8
        .value_kind:     global_buffer
      - .offset:         64
        .size:           4
        .value_kind:     by_value
      - .actual_access:  read_only
        .address_space:  global
        .offset:         72
        .size:           8
        .value_kind:     global_buffer
      - .actual_access:  read_only
        .address_space:  global
        .offset:         80
        .size:           8
        .value_kind:     global_buffer
      - .actual_access:  read_only
        .address_space:  global
        .offset:         88
        .size:           8
        .value_kind:     global_buffer
      - .actual_access:  write_only
        .address_space:  global
        .offset:         96
        .size:           8
        .value_kind:     global_buffer
    .group_segment_fixed_size: 0
    .kernarg_segment_align: 8
    .kernarg_segment_size: 104
    .language:       OpenCL C
    .language_version:
      - 2
      - 0
    .max_flat_workgroup_size: 252
    .name:           fft_rtc_back_len42_factors_7_6_wgs_252_tpt_7_halfLds_sp_op_CI_CI_unitstride_sbrr_dirReg
    .private_segment_fixed_size: 0
    .sgpr_count:     29
    .sgpr_spill_count: 0
    .symbol:         fft_rtc_back_len42_factors_7_6_wgs_252_tpt_7_halfLds_sp_op_CI_CI_unitstride_sbrr_dirReg.kd
    .uniform_work_group_size: 1
    .uses_dynamic_stack: false
    .vgpr_count:     33
    .vgpr_spill_count: 0
    .wavefront_size: 32
    .workgroup_processor_mode: 1
amdhsa.target:   amdgcn-amd-amdhsa--gfx1030
amdhsa.version:
  - 1
  - 2
...

	.end_amdgpu_metadata
